;; amdgpu-corpus repo=ROCm/rocFFT kind=compiled arch=gfx1030 opt=O3
	.text
	.amdgcn_target "amdgcn-amd-amdhsa--gfx1030"
	.amdhsa_code_object_version 6
	.protected	bluestein_single_fwd_len847_dim1_sp_op_CI_CI ; -- Begin function bluestein_single_fwd_len847_dim1_sp_op_CI_CI
	.globl	bluestein_single_fwd_len847_dim1_sp_op_CI_CI
	.p2align	8
	.type	bluestein_single_fwd_len847_dim1_sp_op_CI_CI,@function
bluestein_single_fwd_len847_dim1_sp_op_CI_CI: ; @bluestein_single_fwd_len847_dim1_sp_op_CI_CI
; %bb.0:
	s_load_dwordx4 s[12:15], s[4:5], 0x28
	v_mul_u32_u24_e32 v1, 0x354, v0
	s_mov_b32 s0, exec_lo
	v_lshrrev_b32_e32 v1, 16, v1
	v_mad_u64_u32 v[68:69], null, s6, 3, v[1:2]
	v_mov_b32_e32 v69, 0
	s_waitcnt lgkmcnt(0)
	v_cmpx_gt_u64_e64 s[12:13], v[68:69]
	s_cbranch_execz .LBB0_10
; %bb.1:
	s_clause 0x1
	s_load_dwordx4 s[8:11], s[4:5], 0x18
	s_load_dwordx4 s[0:3], s[4:5], 0x0
	v_mul_lo_u16 v1, 0x4d, v1
	s_load_dwordx2 s[4:5], s[4:5], 0x38
	v_sub_nc_u16 v6, v0, v1
	v_and_b32_e32 v101, 0xffff, v6
	v_lshlrev_b32_e32 v27, 3, v101
	s_waitcnt lgkmcnt(0)
	s_load_dwordx4 s[16:19], s[8:9], 0x0
	s_clause 0x3
	global_load_dwordx2 v[87:88], v27, s[0:1]
	global_load_dwordx2 v[85:86], v27, s[0:1] offset:616
	global_load_dwordx2 v[83:84], v27, s[0:1] offset:1232
	global_load_dwordx2 v[79:80], v27, s[0:1] offset:1848
	v_add_co_u32 v107, s6, s0, v27
	v_add_co_ci_u32_e64 v108, null, s1, 0, s6
	s_waitcnt lgkmcnt(0)
	v_mad_u64_u32 v[0:1], null, s18, v68, 0
	v_mad_u64_u32 v[2:3], null, s16, v101, 0
	s_mul_i32 s0, s17, 0x268
	s_mul_hi_u32 s1, s16, 0x268
	s_mul_i32 s6, s16, 0x268
	s_add_i32 s1, s1, s0
	v_mad_u64_u32 v[4:5], null, s19, v68, v[1:2]
	v_mad_u64_u32 v[7:8], null, s17, v101, v[3:4]
	v_mov_b32_e32 v1, v4
	v_add_co_u32 v8, vcc_lo, 0x800, v107
	v_add_co_ci_u32_e32 v9, vcc_lo, 0, v108, vcc_lo
	v_add_co_u32 v4, vcc_lo, 0x1000, v107
	v_mov_b32_e32 v3, v7
	v_lshlrev_b64 v[0:1], 3, v[0:1]
	v_add_co_ci_u32_e32 v5, vcc_lo, 0, v108, vcc_lo
	v_add_co_u32 v91, vcc_lo, 0x1800, v107
	v_add_co_ci_u32_e32 v92, vcc_lo, 0, v108, vcc_lo
	v_lshlrev_b64 v[2:3], 3, v[2:3]
	v_add_co_u32 v0, vcc_lo, s14, v0
	v_add_co_ci_u32_e32 v1, vcc_lo, s15, v1, vcc_lo
	s_clause 0x2
	global_load_dwordx2 v[89:90], v[8:9], off offset:416
	global_load_dwordx2 v[81:82], v[8:9], off offset:1032
	;; [unrolled: 1-line block ×3, first 2 shown]
	v_add_co_u32 v0, vcc_lo, v0, v2
	v_add_co_ci_u32_e32 v1, vcc_lo, v1, v3, vcc_lo
	v_add_co_u32 v2, vcc_lo, v0, s6
	v_add_co_ci_u32_e32 v3, vcc_lo, s1, v1, vcc_lo
	global_load_dwordx2 v[0:1], v[0:1], off
	v_add_co_u32 v7, vcc_lo, v2, s6
	v_add_co_ci_u32_e32 v8, vcc_lo, s1, v3, vcc_lo
	global_load_dwordx2 v[2:3], v[2:3], off
	v_add_co_u32 v9, vcc_lo, v7, s6
	v_add_co_ci_u32_e32 v10, vcc_lo, s1, v8, vcc_lo
	s_clause 0x1
	global_load_dwordx2 v[73:74], v[4:5], off offset:216
	global_load_dwordx2 v[69:70], v[4:5], off offset:832
	v_add_co_u32 v11, vcc_lo, v9, s6
	v_add_co_ci_u32_e32 v12, vcc_lo, s1, v10, vcc_lo
	v_add_co_u32 v13, vcc_lo, v11, s6
	v_add_co_ci_u32_e32 v14, vcc_lo, s1, v12, vcc_lo
	s_clause 0x2
	global_load_dwordx2 v[15:16], v[7:8], off
	global_load_dwordx2 v[17:18], v[9:10], off
	;; [unrolled: 1-line block ×3, first 2 shown]
	v_add_co_u32 v7, vcc_lo, v13, s6
	v_add_co_ci_u32_e32 v8, vcc_lo, s1, v14, vcc_lo
	global_load_dwordx2 v[12:13], v[13:14], off
	v_add_co_u32 v19, vcc_lo, v7, s6
	v_add_co_ci_u32_e32 v20, vcc_lo, s1, v8, vcc_lo
	global_load_dwordx2 v[21:22], v[7:8], off
	;; [unrolled: 3-line block ×4, first 2 shown]
	v_add_co_u32 v7, vcc_lo, v23, s6
	v_add_co_ci_u32_e32 v8, vcc_lo, s1, v24, vcc_lo
	global_load_dwordx2 v[75:76], v[4:5], off offset:1448
	global_load_dwordx2 v[4:5], v[23:24], off
	global_load_dwordx2 v[77:78], v[91:92], off offset:16
	global_load_dwordx2 v[23:24], v[7:8], off
	v_mul_hi_u32 v7, 0xaaaaaaab, v68
	s_load_dwordx4 s[8:11], s[10:11], 0x0
	v_cmp_gt_u16_e32 vcc_lo, 44, v6
	v_lshrrev_b32_e32 v7, 1, v7
	v_lshl_add_u32 v7, v7, 1, v7
	v_sub_nc_u32_e32 v7, v68, v7
	v_mul_u32_u24_e32 v7, 0x34f, v7
	v_lshlrev_b32_e32 v103, 3, v7
	v_add_nc_u32_e32 v102, v27, v103
	v_add_nc_u32_e32 v7, 0x800, v102
	;; [unrolled: 1-line block ×4, first 2 shown]
	s_waitcnt vmcnt(14)
	v_mul_f32_e32 v8, v0, v88
	v_mul_f32_e32 v27, v1, v88
	s_waitcnt vmcnt(13)
	v_mul_f32_e32 v29, v3, v86
	v_mul_f32_e32 v14, v2, v86
	v_fma_f32 v28, v1, v87, -v8
	v_fmac_f32_e32 v27, v0, v87
	v_add_nc_u32_e32 v8, 0x1000, v102
	v_fmac_f32_e32 v29, v2, v85
	v_fma_f32 v30, v3, v85, -v14
	ds_write2_b64 v102, v[27:28], v[29:30] offset1:77
	s_waitcnt vmcnt(10)
	v_mul_f32_e32 v1, v15, v84
	s_waitcnt vmcnt(9)
	v_mul_f32_e32 v2, v18, v80
	v_mul_f32_e32 v0, v16, v84
	v_mul_f32_e32 v3, v17, v80
	s_waitcnt vmcnt(8)
	v_mul_f32_e32 v14, v11, v90
	v_fma_f32 v1, v16, v83, -v1
	v_fmac_f32_e32 v2, v17, v79
	s_waitcnt vmcnt(7)
	v_mul_f32_e32 v16, v13, v82
	v_mul_f32_e32 v17, v12, v82
	v_fmac_f32_e32 v0, v15, v83
	v_mul_f32_e32 v15, v10, v90
	v_fmac_f32_e32 v14, v10, v89
	v_fmac_f32_e32 v16, v12, v81
	s_waitcnt vmcnt(6)
	v_mul_f32_e32 v10, v22, v72
	v_fma_f32 v17, v13, v81, -v17
	v_fma_f32 v3, v18, v79, -v3
	;; [unrolled: 1-line block ×3, first 2 shown]
	s_waitcnt vmcnt(5)
	v_mul_f32_e32 v12, v20, v74
	v_mul_f32_e32 v13, v19, v74
	;; [unrolled: 1-line block ×3, first 2 shown]
	v_fmac_f32_e32 v10, v21, v71
	s_waitcnt vmcnt(4)
	v_mul_f32_e32 v18, v26, v70
	v_fmac_f32_e32 v12, v19, v73
	v_fma_f32 v13, v20, v73, -v13
	v_mul_f32_e32 v19, v25, v70
	s_waitcnt vmcnt(2)
	v_mul_f32_e32 v20, v5, v76
	v_mul_f32_e32 v21, v4, v76
	v_fma_f32 v11, v22, v71, -v11
	v_fmac_f32_e32 v18, v25, v69
	s_waitcnt vmcnt(0)
	v_mul_f32_e32 v22, v24, v78
	v_mul_f32_e32 v25, v23, v78
	v_fma_f32 v19, v26, v69, -v19
	v_fmac_f32_e32 v20, v4, v75
	v_fma_f32 v21, v5, v75, -v21
	v_fmac_f32_e32 v22, v23, v77
	v_fma_f32 v23, v24, v77, -v25
	ds_write2_b64 v102, v[0:1], v[2:3] offset0:154 offset1:231
	ds_write2_b64 v7, v[14:15], v[16:17] offset0:52 offset1:129
	;; [unrolled: 1-line block ×4, first 2 shown]
	ds_write_b64 v102, v[22:23] offset:6160
	s_waitcnt lgkmcnt(0)
	s_barrier
	buffer_gl0_inv
	ds_read2_b64 v[0:3], v102 offset1:77
	ds_read_b64 v[4:5], v102 offset:6160
	v_mul_lo_u16 v18, v6, 11
	ds_read2_b64 v[10:13], v7 offset0:52 offset1:129
	ds_read2_b64 v[14:17], v9 offset0:78 offset1:155
	v_and_b32_e32 v26, 0xffff, v18
	ds_read2_b64 v[18:21], v102 offset0:154 offset1:231
	ds_read2_b64 v[22:25], v8 offset0:104 offset1:181
	s_waitcnt lgkmcnt(0)
	s_barrier
	buffer_gl0_inv
	v_lshl_add_u32 v104, v26, 3, v103
	v_add_f32_e32 v26, v0, v2
	v_add_f32_e32 v27, v1, v3
	;; [unrolled: 1-line block ×3, first 2 shown]
	v_sub_f32_e32 v29, v3, v5
	v_sub_f32_e32 v2, v2, v4
	v_add_f32_e32 v3, v5, v3
	v_sub_f32_e32 v33, v10, v16
	v_sub_f32_e32 v34, v11, v17
	v_add_f32_e32 v39, v24, v18
	v_add_f32_e32 v40, v25, v19
	v_sub_f32_e32 v41, v18, v24
	v_sub_f32_e32 v42, v19, v25
	v_add_f32_e32 v18, v26, v18
	v_add_f32_e32 v19, v27, v19
	v_mul_f32_e32 v26, 0xbf0a6770, v29
	v_mul_f32_e32 v27, 0xbf0a6770, v2
	;; [unrolled: 1-line block ×10, first 2 shown]
	v_sub_f32_e32 v37, v12, v14
	v_sub_f32_e32 v38, v13, v15
	;; [unrolled: 1-line block ×4, first 2 shown]
	v_fma_f32 v116, 0x3f575c64, v28, -v26
	v_fmamk_f32 v117, v3, 0x3f575c64, v27
	v_fmac_f32_e32 v26, 0x3f575c64, v28
	v_fma_f32 v27, 0x3f575c64, v3, -v27
	v_fma_f32 v118, 0x3ed4b147, v28, -v47
	v_fmamk_f32 v119, v3, 0x3ed4b147, v48
	v_fmac_f32_e32 v47, 0x3ed4b147, v28
	v_fma_f32 v48, 0x3ed4b147, v3, -v48
	;; [unrolled: 4-line block ×4, first 2 shown]
	v_fma_f32 v124, 0xbf75a155, v28, -v29
	v_fmac_f32_e32 v29, 0xbf75a155, v28
	v_fmamk_f32 v28, v3, 0xbf75a155, v2
	v_fma_f32 v2, 0xbf75a155, v3, -v2
	v_add_f32_e32 v3, v18, v20
	v_add_f32_e32 v18, v19, v21
	;; [unrolled: 1-line block ×8, first 2 shown]
	v_mul_f32_e32 v53, 0xbf68dda4, v42
	v_mul_f32_e32 v54, 0xbf68dda4, v41
	v_mul_f32_e32 v55, 0xbf7d64f0, v46
	v_mul_f32_e32 v56, 0xbf7d64f0, v45
	v_mul_f32_e32 v57, 0xbf4178ce, v34
	v_mul_f32_e32 v58, 0xbf4178ce, v33
	v_mul_f32_e32 v59, 0xbe903f40, v38
	v_mul_f32_e32 v60, 0xbe903f40, v37
	v_mul_f32_e32 v61, 0xbf4178ce, v42
	v_mul_f32_e32 v62, 0xbf4178ce, v41
	v_mul_f32_e32 v63, 0x3e903f40, v46
	v_mul_f32_e32 v64, 0x3e903f40, v45
	v_mul_f32_e32 v65, 0x3f7d64f0, v34
	v_mul_f32_e32 v66, 0x3f7d64f0, v33
	v_mul_f32_e32 v67, 0x3f0a6770, v38
	v_mul_f32_e32 v93, 0x3f0a6770, v37
	v_mul_f32_e32 v94, 0x3e903f40, v42
	v_mul_f32_e32 v95, 0x3e903f40, v41
	v_mul_f32_e32 v96, 0x3f68dda4, v46
	v_mul_f32_e32 v97, 0x3f68dda4, v45
	v_mul_f32_e32 v98, 0xbf0a6770, v34
	v_mul_f32_e32 v99, 0xbf0a6770, v33
	v_mul_f32_e32 v100, 0xbf4178ce, v38
	v_mul_f32_e32 v105, 0xbf4178ce, v37
	v_mul_f32_e32 v106, 0x3f7d64f0, v42
	v_mul_f32_e32 v42, 0x3f0a6770, v42
	v_mul_f32_e32 v109, 0x3f7d64f0, v41
	v_mul_f32_e32 v41, 0x3f0a6770, v41
	v_mul_f32_e32 v110, 0xbf0a6770, v46
	v_mul_f32_e32 v46, 0xbf4178ce, v46
	v_mul_f32_e32 v111, 0xbf0a6770, v45
	v_mul_f32_e32 v45, 0xbf4178ce, v45
	v_mul_f32_e32 v112, 0xbe903f40, v34
	v_mul_f32_e32 v34, 0x3f68dda4, v34
	v_mul_f32_e32 v113, 0xbe903f40, v33
	v_mul_f32_e32 v33, 0x3f68dda4, v33
	v_mul_f32_e32 v114, 0x3f68dda4, v38
	v_mul_f32_e32 v38, 0xbf7d64f0, v38
	v_mul_f32_e32 v115, 0x3f68dda4, v37
	v_mul_f32_e32 v37, 0xbf7d64f0, v37
	v_add_f32_e32 v3, v3, v10
	v_add_f32_e32 v10, v18, v11
	v_fma_f32 v19, 0x3ed4b147, v39, -v53
	v_fmamk_f32 v20, v40, 0x3ed4b147, v54
	v_fma_f32 v21, 0xbe11bafb, v43, -v55
	v_fmamk_f32 v125, v44, 0xbe11bafb, v56
	v_fma_f32 v126, 0xbf27a4f4, v30, -v57
	v_fmamk_f32 v127, v31, 0xbf27a4f4, v58
	v_fma_f32 v128, 0xbf75a155, v35, -v59
	v_fmamk_f32 v129, v36, 0xbf75a155, v60
	v_fmac_f32_e32 v53, 0x3ed4b147, v39
	v_fma_f32 v54, 0x3ed4b147, v40, -v54
	v_fmac_f32_e32 v55, 0xbe11bafb, v43
	v_fma_f32 v56, 0xbe11bafb, v44, -v56
	v_fmac_f32_e32 v57, 0xbf27a4f4, v30
	v_fma_f32 v58, 0xbf27a4f4, v31, -v58
	v_fmac_f32_e32 v59, 0xbf75a155, v35
	v_fma_f32 v60, 0xbf75a155, v36, -v60
	v_fma_f32 v130, 0xbf27a4f4, v39, -v61
	v_fmamk_f32 v131, v40, 0xbf27a4f4, v62
	v_fma_f32 v132, 0xbf75a155, v43, -v63
	v_fmamk_f32 v133, v44, 0xbf75a155, v64
	v_fma_f32 v134, 0xbe11bafb, v30, -v65
	v_fmamk_f32 v135, v31, 0xbe11bafb, v66
	v_fma_f32 v136, 0x3f575c64, v35, -v67
	v_fmamk_f32 v137, v36, 0x3f575c64, v93
	v_fmac_f32_e32 v61, 0xbf27a4f4, v39
	v_fma_f32 v62, 0xbf27a4f4, v40, -v62
	v_fmac_f32_e32 v63, 0xbf75a155, v43
	v_fma_f32 v64, 0xbf75a155, v44, -v64
	v_fmac_f32_e32 v65, 0xbe11bafb, v30
	v_fma_f32 v66, 0xbe11bafb, v31, -v66
	v_fmac_f32_e32 v67, 0x3f575c64, v35
	v_fma_f32 v93, 0x3f575c64, v36, -v93
	;; [unrolled: 16-line block ×3, first 2 shown]
	v_fma_f32 v146, 0xbe11bafb, v39, -v106
	v_fmac_f32_e32 v106, 0xbe11bafb, v39
	v_fma_f32 v147, 0x3f575c64, v39, -v42
	v_fmac_f32_e32 v42, 0x3f575c64, v39
	v_fmamk_f32 v39, v40, 0xbe11bafb, v109
	v_fma_f32 v109, 0xbe11bafb, v40, -v109
	v_fmamk_f32 v148, v40, 0x3f575c64, v41
	v_fma_f32 v40, 0x3f575c64, v40, -v41
	v_fma_f32 v41, 0x3f575c64, v43, -v110
	v_fmac_f32_e32 v110, 0x3f575c64, v43
	v_fma_f32 v149, 0xbf27a4f4, v43, -v46
	v_fmac_f32_e32 v46, 0xbf27a4f4, v43
	v_fmamk_f32 v43, v44, 0x3f575c64, v111
	v_fma_f32 v111, 0x3f575c64, v44, -v111
	v_fmamk_f32 v150, v44, 0xbf27a4f4, v45
	v_fma_f32 v44, 0xbf27a4f4, v44, -v45
	v_fma_f32 v45, 0xbf75a155, v30, -v112
	v_fmac_f32_e32 v112, 0xbf75a155, v30
	v_fma_f32 v151, 0x3ed4b147, v30, -v34
	v_fmac_f32_e32 v34, 0x3ed4b147, v30
	v_fmamk_f32 v30, v31, 0xbf75a155, v113
	v_fma_f32 v113, 0xbf75a155, v31, -v113
	v_fmamk_f32 v152, v31, 0x3ed4b147, v33
	v_fma_f32 v31, 0x3ed4b147, v31, -v33
	v_fma_f32 v33, 0x3ed4b147, v35, -v114
	v_fmac_f32_e32 v114, 0x3ed4b147, v35
	v_fma_f32 v153, 0xbe11bafb, v35, -v38
	v_fmac_f32_e32 v38, 0xbe11bafb, v35
	v_fmamk_f32 v35, v36, 0x3ed4b147, v115
	v_fma_f32 v115, 0x3ed4b147, v36, -v115
	v_fmamk_f32 v154, v36, 0xbe11bafb, v37
	v_fma_f32 v36, 0xbe11bafb, v36, -v37
	v_add_f32_e32 v37, v0, v116
	v_add_f32_e32 v116, v1, v117
	;; [unrolled: 1-line block ×110, first 2 shown]
	ds_write2_b64 v104, v[2:3], v[10:11] offset0:2 offset1:3
	v_add_f32_e32 v2, v18, v4
	v_add_f32_e32 v3, v19, v5
	ds_write2_b64 v104, v[12:13], v[14:15] offset0:4 offset1:5
	ds_write2_b64 v104, v[16:17], v[28:29] offset0:6 offset1:7
	ds_write2_b64 v104, v[46:47], v[44:45] offset0:8 offset1:9
	ds_write_b64 v104, v[30:31] offset:80
	ds_write2_b64 v104, v[2:3], v[0:1] offset1:1
	s_waitcnt lgkmcnt(0)
	s_barrier
	buffer_gl0_inv
	ds_read2_b64 v[24:27], v102 offset1:121
	ds_read2_b64 v[40:43], v32 offset0:114 offset1:235
	ds_read2_b64 v[36:39], v9 offset0:100 offset1:221
	ds_read_b64 v[48:49], v102 offset:5808
                                        ; implicit-def: $vgpr34
                                        ; implicit-def: $vgpr50
	s_and_saveexec_b32 s0, vcc_lo
	s_cbranch_execz .LBB0_3
; %bb.2:
	ds_read2_b64 v[28:31], v7 offset0:63 offset1:184
	ds_read2_b64 v[0:3], v102 offset0:77 offset1:198
	;; [unrolled: 1-line block ×3, first 2 shown]
	ds_read_b64 v[50:51], v102 offset:6424
	s_waitcnt lgkmcnt(3)
	v_mov_b32_e32 v44, v28
	v_mov_b32_e32 v45, v29
	s_waitcnt lgkmcnt(2)
	v_mov_b32_e32 v46, v2
	v_mov_b32_e32 v47, v3
	;; [unrolled: 1-line block ×4, first 2 shown]
.LBB0_3:
	s_or_b32 exec_lo, exec_lo, s0
	v_and_b32_e32 v0, 0xff, v101
	v_add_nc_u16 v2, v101, 0x4d
	v_mov_b32_e32 v4, 6
	v_mov_b32_e32 v52, 0x4d
	v_mul_lo_u16 v0, 0x75, v0
	v_and_b32_e32 v3, 0xff, v2
	v_lshrrev_b16 v0, 8, v0
	v_mul_lo_u16 v3, 0x75, v3
	v_sub_nc_u16 v1, v101, v0
	v_lshrrev_b16 v1, 1, v1
	v_and_b32_e32 v1, 0x7f, v1
	v_add_nc_u16 v0, v1, v0
	v_lshrrev_b16 v1, 8, v3
	v_lshrrev_b16 v53, 3, v0
	v_sub_nc_u16 v0, v2, v1
	v_mul_lo_u16 v3, v53, 11
	v_lshrrev_b16 v0, 1, v0
	v_mul_u32_u24_sdwa v53, v53, v52 dst_sel:DWORD dst_unused:UNUSED_PAD src0_sel:WORD_0 src1_sel:DWORD
	v_sub_nc_u16 v54, v101, v3
	v_and_b32_e32 v0, 0x7f, v0
	v_mul_u32_u24_sdwa v3, v54, v4 dst_sel:DWORD dst_unused:UNUSED_PAD src0_sel:BYTE_0 src1_sel:DWORD
	v_add_nc_u16 v0, v0, v1
	v_add_nc_u32_sdwa v53, v53, v54 dst_sel:DWORD dst_unused:UNUSED_PAD src0_sel:DWORD src1_sel:BYTE_0
	v_lshlrev_b32_e32 v1, 3, v3
	v_lshrrev_b16 v105, 3, v0
	v_lshl_add_u32 v109, v53, 3, v103
	s_clause 0x1
	global_load_dwordx4 v[20:23], v1, s[2:3]
	global_load_dwordx4 v[16:19], v1, s[2:3] offset:16
	v_mul_lo_u16 v0, v105, 11
	global_load_dwordx4 v[12:15], v1, s[2:3] offset:32
	v_sub_nc_u16 v106, v2, v0
	v_mul_u32_u24_sdwa v0, v106, v4 dst_sel:DWORD dst_unused:UNUSED_PAD src0_sel:BYTE_0 src1_sel:DWORD
	v_lshlrev_b32_e32 v8, 3, v0
	s_clause 0x2
	global_load_dwordx4 v[4:7], v8, s[2:3]
	global_load_dwordx4 v[0:3], v8, s[2:3] offset:16
	global_load_dwordx4 v[8:11], v8, s[2:3] offset:32
	s_waitcnt vmcnt(0) lgkmcnt(0)
	s_barrier
	buffer_gl0_inv
	v_mul_f32_e32 v53, v27, v21
	v_mul_f32_e32 v54, v26, v21
	;; [unrolled: 1-line block ×12, first 2 shown]
	v_fma_f32 v26, v26, v20, -v53
	v_fmac_f32_e32 v54, v27, v20
	v_fma_f32 v27, v40, v22, -v55
	v_fmac_f32_e32 v56, v41, v22
	;; [unrolled: 2-line block ×6, first 2 shown]
	v_mul_f32_e32 v39, v47, v5
	v_mul_f32_e32 v41, v46, v5
	;; [unrolled: 1-line block ×12, first 2 shown]
	v_fma_f32 v39, v46, v4, -v39
	v_fmac_f32_e32 v41, v47, v4
	v_fma_f32 v42, v44, v6, -v42
	v_fmac_f32_e32 v43, v45, v6
	v_fmac_f32_e32 v49, v31, v0
	v_fma_f32 v31, v32, v2, -v53
	v_fmac_f32_e32 v55, v33, v2
	v_fma_f32 v32, v34, v8, -v57
	v_fmac_f32_e32 v59, v35, v8
	v_fma_f32 v33, v50, v10, -v61
	v_fmac_f32_e32 v63, v51, v10
	v_add_f32_e32 v34, v26, v38
	v_add_f32_e32 v35, v54, v64
	v_sub_f32_e32 v26, v26, v38
	v_sub_f32_e32 v38, v54, v64
	v_add_f32_e32 v44, v27, v37
	v_add_f32_e32 v45, v56, v62
	v_sub_f32_e32 v27, v27, v37
	v_sub_f32_e32 v37, v56, v62
	;; [unrolled: 4-line block ×3, first 2 shown]
	v_fma_f32 v30, v30, v0, -v48
	v_add_f32_e32 v48, v44, v34
	v_add_f32_e32 v50, v45, v35
	v_sub_f32_e32 v51, v44, v34
	v_sub_f32_e32 v53, v45, v35
	;; [unrolled: 1-line block ×6, first 2 shown]
	v_add_f32_e32 v54, v36, v27
	v_add_f32_e32 v56, v40, v37
	v_sub_f32_e32 v57, v36, v27
	v_sub_f32_e32 v58, v40, v37
	v_sub_f32_e32 v37, v37, v38
	v_add_f32_e32 v60, v39, v33
	v_add_f32_e32 v61, v41, v63
	v_sub_f32_e32 v33, v39, v33
	v_add_f32_e32 v39, v42, v32
	v_add_f32_e32 v62, v43, v59
	v_sub_f32_e32 v36, v26, v36
	v_sub_f32_e32 v40, v38, v40
	;; [unrolled: 1-line block ×6, first 2 shown]
	v_add_f32_e32 v43, v30, v31
	v_add_f32_e32 v59, v49, v55
	v_sub_f32_e32 v30, v31, v30
	v_sub_f32_e32 v31, v55, v49
	v_add_f32_e32 v46, v46, v48
	v_add_f32_e32 v47, v47, v50
	v_add_f32_e32 v26, v54, v26
	v_mul_f32_e32 v34, 0x3f4a47b2, v34
	v_mul_f32_e32 v35, 0x3f4a47b2, v35
	;; [unrolled: 1-line block ×7, first 2 shown]
	v_add_f32_e32 v58, v39, v60
	v_add_f32_e32 v63, v62, v61
	v_add_f32_e32 v48, v56, v38
	v_mul_f32_e32 v56, 0x3f5ff5aa, v27
	v_sub_f32_e32 v64, v39, v60
	v_sub_f32_e32 v65, v62, v61
	;; [unrolled: 1-line block ×6, first 2 shown]
	v_add_f32_e32 v67, v30, v32
	v_add_f32_e32 v93, v31, v42
	v_sub_f32_e32 v94, v30, v32
	v_sub_f32_e32 v95, v31, v42
	v_sub_f32_e32 v96, v41, v31
	v_sub_f32_e32 v31, v32, v33
	v_sub_f32_e32 v32, v42, v41
	v_add_f32_e32 v38, v24, v46
	v_add_f32_e32 v39, v25, v47
	v_fmamk_f32 v42, v44, 0x3d64c772, v34
	v_fmamk_f32 v44, v45, 0x3d64c772, v35
	v_fma_f32 v45, 0x3f3bfb3b, v51, -v49
	v_fma_f32 v49, 0x3f3bfb3b, v53, -v50
	;; [unrolled: 1-line block ×3, first 2 shown]
	v_fmamk_f32 v98, v40, 0x3eae86e6, v55
	v_fma_f32 v53, 0xbeae86e6, v40, -v57
	v_add_f32_e32 v40, v43, v58
	v_add_f32_e32 v43, v59, v63
	v_sub_f32_e32 v30, v33, v30
	v_fma_f32 v34, 0xbf3bfb3b, v51, -v34
	v_fmamk_f32 v97, v36, 0x3eae86e6, v54
	v_fma_f32 v51, 0x3f5ff5aa, v27, -v54
	v_fma_f32 v37, 0x3f5ff5aa, v37, -v55
	;; [unrolled: 1-line block ×3, first 2 shown]
	v_mul_f32_e32 v27, 0x3f4a47b2, v60
	v_mul_f32_e32 v50, 0x3f4a47b2, v61
	;; [unrolled: 1-line block ×8, first 2 shown]
	v_fmamk_f32 v46, v46, 0xbf955555, v38
	v_fmamk_f32 v47, v47, 0xbf955555, v39
	v_add_f32_e32 v24, v28, v40
	v_add_f32_e32 v25, v29, v43
	;; [unrolled: 1-line block ×4, first 2 shown]
	v_fmac_f32_e32 v97, 0x3ee1c552, v26
	v_fmac_f32_e32 v98, 0x3ee1c552, v48
	;; [unrolled: 1-line block ×6, first 2 shown]
	v_fmamk_f32 v60, v66, 0x3d64c772, v27
	v_fmamk_f32 v61, v62, 0x3d64c772, v50
	v_fma_f32 v62, 0x3f3bfb3b, v64, -v54
	v_fma_f32 v63, 0x3f3bfb3b, v65, -v55
	;; [unrolled: 1-line block ×4, first 2 shown]
	v_fmamk_f32 v26, v30, 0x3eae86e6, v56
	v_fmamk_f32 v27, v96, 0x3eae86e6, v57
	v_fma_f32 v31, 0x3f5ff5aa, v31, -v56
	v_fma_f32 v29, 0x3f5ff5aa, v32, -v57
	;; [unrolled: 1-line block ×4, first 2 shown]
	v_add_f32_e32 v32, v42, v46
	v_add_f32_e32 v44, v44, v47
	;; [unrolled: 1-line block ×6, first 2 shown]
	v_fmamk_f32 v46, v40, 0xbf955555, v24
	v_fmamk_f32 v47, v43, 0xbf955555, v25
	v_fmac_f32_e32 v26, 0x3ee1c552, v33
	v_fmac_f32_e32 v27, 0x3ee1c552, v41
	v_fmac_f32_e32 v31, 0x3ee1c552, v33
	v_fmac_f32_e32 v29, 0x3ee1c552, v41
	v_fmac_f32_e32 v30, 0x3ee1c552, v33
	v_fmac_f32_e32 v28, 0x3ee1c552, v41
	v_add_f32_e32 v40, v98, v32
	v_add_f32_e32 v42, v53, v34
	v_sub_f32_e32 v43, v35, v36
	v_sub_f32_e32 v48, v45, v37
	v_add_f32_e32 v49, v51, v54
	v_add_f32_e32 v50, v37, v45
	v_sub_f32_e32 v51, v54, v51
	v_sub_f32_e32 v53, v34, v53
	v_add_f32_e32 v54, v36, v35
	v_sub_f32_e32 v55, v32, v98
	v_add_f32_e32 v32, v60, v46
	v_add_f32_e32 v34, v62, v46
	;; [unrolled: 1-line block ×6, first 2 shown]
	v_sub_f32_e32 v41, v44, v97
	v_add_f32_e32 v56, v97, v44
	v_add_f32_e32 v44, v29, v34
	v_sub_f32_e32 v45, v37, v31
	v_sub_f32_e32 v46, v33, v28
	v_add_f32_e32 v47, v30, v36
	v_sub_f32_e32 v93, v32, v27
	v_add_f32_e32 v94, v26, v35
	ds_write2_b64 v109, v[38:39], v[40:41] offset1:11
	ds_write2_b64 v109, v[42:43], v[48:49] offset0:22 offset1:33
	ds_write2_b64 v109, v[50:51], v[53:54] offset0:44 offset1:55
	ds_write_b64 v109, v[55:56] offset:528
	s_and_saveexec_b32 s0, vcc_lo
	s_cbranch_execz .LBB0_5
; %bb.4:
	v_mul_u32_u24_sdwa v39, v105, v52 dst_sel:DWORD dst_unused:UNUSED_PAD src0_sel:WORD_0 src1_sel:DWORD
	v_add_f32_e32 v38, v31, v37
	v_sub_f32_e32 v37, v34, v29
	v_sub_f32_e32 v29, v36, v30
	;; [unrolled: 1-line block ×3, first 2 shown]
	v_add_nc_u32_sdwa v39, v39, v106 dst_sel:DWORD dst_unused:UNUSED_PAD src0_sel:DWORD src1_sel:BYTE_0
	v_add_f32_e32 v30, v27, v32
	v_add_f32_e32 v28, v28, v33
	v_lshl_add_u32 v26, v39, 3, v103
	ds_write2_b64 v26, v[24:25], v[30:31] offset1:11
	ds_write2_b64 v26, v[28:29], v[37:38] offset0:22 offset1:33
	ds_write2_b64 v26, v[44:45], v[46:47] offset0:44 offset1:55
	ds_write_b64 v26, v[93:94] offset:528
.LBB0_5:
	s_or_b32 exec_lo, exec_lo, s0
	v_mad_u64_u32 v[32:33], null, 0x50, v101, s[2:3]
	s_waitcnt lgkmcnt(0)
	s_barrier
	buffer_gl0_inv
	v_add_nc_u32_e32 v111, 0x800, v102
	v_add_nc_u32_e32 v112, 0xc00, v102
	;; [unrolled: 1-line block ×3, first 2 shown]
	s_clause 0x4
	global_load_dwordx4 v[40:43], v[32:33], off offset:528
	global_load_dwordx4 v[36:39], v[32:33], off offset:544
	global_load_dwordx4 v[28:31], v[32:33], off offset:560
	global_load_dwordx4 v[24:27], v[32:33], off offset:576
	global_load_dwordx4 v[32:35], v[32:33], off offset:592
	ds_read2_b64 v[48:51], v102 offset1:77
	ds_read2_b64 v[52:55], v102 offset0:154 offset1:231
	ds_read2_b64 v[56:59], v111 offset0:52 offset1:129
	ds_read_b64 v[95:96], v102 offset:6160
	ds_read2_b64 v[60:63], v112 offset0:78 offset1:155
	ds_read2_b64 v[64:67], v110 offset0:104 offset1:181
	v_add_co_u32 v97, s0, 0x1a78, v107
	v_add_co_ci_u32_e64 v98, s0, 0, v108, s0
	v_add_co_u32 v99, s0, 0x2000, v107
	v_add_co_ci_u32_e64 v100, s0, 0, v108, s0
	s_waitcnt vmcnt(4) lgkmcnt(5)
	v_mul_f32_e32 v113, v51, v41
	v_mul_f32_e32 v114, v50, v41
	s_waitcnt lgkmcnt(4)
	v_mul_f32_e32 v115, v53, v43
	v_mul_f32_e32 v116, v52, v43
	s_waitcnt vmcnt(3)
	v_mul_f32_e32 v117, v55, v37
	v_mul_f32_e32 v118, v54, v37
	s_waitcnt vmcnt(2) lgkmcnt(3)
	v_mul_f32_e32 v121, v59, v29
	v_mul_f32_e32 v122, v58, v29
	s_waitcnt lgkmcnt(1)
	v_mul_f32_e32 v123, v61, v31
	s_waitcnt vmcnt(1) lgkmcnt(0)
	v_mul_f32_e32 v128, v64, v27
	s_waitcnt vmcnt(0)
	v_mul_f32_e32 v129, v67, v33
	v_mul_f32_e32 v131, v96, v35
	;; [unrolled: 1-line block ×3, first 2 shown]
	v_fma_f32 v50, v50, v40, -v113
	v_fmac_f32_e32 v114, v51, v40
	v_mul_f32_e32 v119, v57, v39
	v_mul_f32_e32 v120, v56, v39
	;; [unrolled: 1-line block ×7, first 2 shown]
	v_fma_f32 v51, v52, v42, -v115
	v_fmac_f32_e32 v116, v53, v42
	v_fma_f32 v52, v54, v36, -v117
	v_fmac_f32_e32 v118, v55, v36
	;; [unrolled: 2-line block ×4, first 2 shown]
	v_fma_f32 v59, v66, v32, -v129
	v_fma_f32 v65, v95, v34, -v131
	v_fmac_f32_e32 v132, v96, v34
	v_add_f32_e32 v58, v48, v50
	v_add_f32_e32 v60, v49, v114
	v_fma_f32 v53, v56, v38, -v119
	v_fmac_f32_e32 v120, v57, v38
	v_fmac_f32_e32 v124, v61, v30
	v_fma_f32 v56, v62, v24, -v125
	v_fmac_f32_e32 v126, v63, v24
	v_fma_f32 v57, v64, v26, -v127
	v_fmac_f32_e32 v130, v67, v32
	v_add_f32_e32 v61, v50, v65
	v_sub_f32_e32 v50, v50, v65
	v_sub_f32_e32 v63, v114, v132
	v_add_f32_e32 v64, v51, v59
	v_sub_f32_e32 v67, v51, v59
	v_add_f32_e32 v51, v58, v51
	v_add_f32_e32 v58, v60, v116
	;; [unrolled: 1-line block ×4, first 2 shown]
	v_sub_f32_e32 v95, v116, v130
	v_add_f32_e32 v96, v52, v57
	v_sub_f32_e32 v114, v52, v57
	v_sub_f32_e32 v115, v118, v128
	;; [unrolled: 1-line block ×6, first 2 shown]
	v_mul_f32_e32 v60, 0xbf0a6770, v63
	v_mul_f32_e32 v116, 0xbf0a6770, v50
	;; [unrolled: 1-line block ×9, first 2 shown]
	v_add_f32_e32 v51, v51, v52
	v_add_f32_e32 v52, v58, v118
	;; [unrolled: 1-line block ×7, first 2 shown]
	v_mul_f32_e32 v63, 0xbe903f40, v63
	v_mul_f32_e32 v139, 0xbf68dda4, v95
	;; [unrolled: 1-line block ×41, first 2 shown]
	v_fma_f32 v58, 0x3f575c64, v61, -v60
	v_fmamk_f32 v118, v62, 0x3f575c64, v116
	v_fmac_f32_e32 v60, 0x3f575c64, v61
	v_fma_f32 v116, 0x3f575c64, v62, -v116
	v_fma_f32 v171, 0x3ed4b147, v61, -v133
	v_fmamk_f32 v172, v62, 0x3ed4b147, v134
	v_fmac_f32_e32 v133, 0x3ed4b147, v61
	v_fma_f32 v134, 0x3ed4b147, v62, -v134
	;; [unrolled: 4-line block ×4, first 2 shown]
	v_fmamk_f32 v178, v62, 0xbf75a155, v50
	v_fma_f32 v50, 0xbf75a155, v62, -v50
	v_add_f32_e32 v51, v51, v53
	v_add_f32_e32 v52, v52, v120
	v_fma_f32 v177, 0xbf75a155, v61, -v63
	v_fmac_f32_e32 v63, 0xbf75a155, v61
	v_fma_f32 v61, 0x3ed4b147, v64, -v139
	v_fmamk_f32 v62, v66, 0x3ed4b147, v140
	v_fmac_f32_e32 v139, 0x3ed4b147, v64
	v_fma_f32 v140, 0x3ed4b147, v66, -v140
	v_fma_f32 v179, 0xbf27a4f4, v64, -v141
	v_fmamk_f32 v180, v66, 0xbf27a4f4, v142
	v_fmac_f32_e32 v141, 0xbf27a4f4, v64
	v_fma_f32 v142, 0xbf27a4f4, v66, -v142
	;; [unrolled: 4-line block ×9, first 2 shown]
	v_fma_f32 v193, 0xbf27a4f4, v96, -v115
	v_fmac_f32_e32 v115, 0xbf27a4f4, v96
	v_fmamk_f32 v96, v113, 0xbf27a4f4, v114
	v_fma_f32 v113, 0xbf27a4f4, v113, -v114
	v_fma_f32 v114, 0xbf27a4f4, v119, -v155
	v_fmac_f32_e32 v155, 0xbf27a4f4, v119
	v_fma_f32 v194, 0xbe11bafb, v119, -v156
	v_fmac_f32_e32 v156, 0xbe11bafb, v119
	;; [unrolled: 2-line block ×5, first 2 shown]
	v_fmamk_f32 v119, v123, 0xbf27a4f4, v159
	v_fma_f32 v159, 0xbf27a4f4, v123, -v159
	v_fmamk_f32 v198, v123, 0xbe11bafb, v160
	v_fma_f32 v160, 0xbe11bafb, v123, -v160
	;; [unrolled: 2-line block ×5, first 2 shown]
	v_fma_f32 v123, 0xbf75a155, v127, -v163
	v_fmac_f32_e32 v163, 0xbf75a155, v127
	v_fma_f32 v202, 0x3f575c64, v127, -v164
	v_fmac_f32_e32 v164, 0x3f575c64, v127
	v_fma_f32 v203, 0xbf27a4f4, v127, -v165
	v_fmac_f32_e32 v165, 0xbf27a4f4, v127
	v_fma_f32 v204, 0x3ed4b147, v127, -v166
	v_fmac_f32_e32 v166, 0x3ed4b147, v127
	v_fma_f32 v205, 0xbe11bafb, v127, -v125
	v_fmac_f32_e32 v125, 0xbe11bafb, v127
	v_fmamk_f32 v127, v131, 0xbf75a155, v167
	v_fma_f32 v167, 0xbf75a155, v131, -v167
	v_fmamk_f32 v206, v131, 0x3f575c64, v168
	v_fma_f32 v168, 0x3f575c64, v131, -v168
	;; [unrolled: 2-line block ×5, first 2 shown]
	v_add_f32_e32 v58, v48, v58
	v_add_f32_e32 v118, v49, v118
	;; [unrolled: 1-line block ×112, first 2 shown]
	ds_write2_b64 v102, v[66:67], v[48:49] offset1:77
	ds_write2_b64 v102, v[52:53], v[56:57] offset0:154 offset1:231
	ds_write2_b64 v111, v[60:61], v[64:65] offset0:52 offset1:129
	;; [unrolled: 1-line block ×4, first 2 shown]
	ds_write_b64 v102, v[50:51] offset:6160
	v_add_co_u32 v48, s0, 0x2800, v107
	v_add_co_ci_u32_e64 v49, s0, 0, v108, s0
	s_waitcnt lgkmcnt(0)
	s_barrier
	buffer_gl0_inv
	s_clause 0x1
	global_load_dwordx2 v[91:92], v[91:92], off offset:632
	global_load_dwordx2 v[95:96], v[97:98], off offset:616
	v_add_co_u32 v50, s0, 0x3000, v107
	v_add_co_ci_u32_e64 v51, s0, 0, v108, s0
	s_clause 0x8
	global_load_dwordx2 v[113:114], v[97:98], off offset:1232
	global_load_dwordx2 v[97:98], v[97:98], off offset:1848
	;; [unrolled: 1-line block ×9, first 2 shown]
	ds_read2_b64 v[48:51], v102 offset1:77
	ds_read2_b64 v[52:55], v102 offset0:154 offset1:231
	ds_read2_b64 v[56:59], v111 offset0:52 offset1:129
	;; [unrolled: 1-line block ×4, first 2 shown]
	ds_read_b64 v[125:126], v102 offset:6160
	s_waitcnt vmcnt(10) lgkmcnt(5)
	v_mul_f32_e32 v127, v49, v92
	v_mul_f32_e32 v128, v48, v92
	s_waitcnt vmcnt(9)
	v_mul_f32_e32 v129, v51, v96
	v_mul_f32_e32 v92, v50, v96
	s_waitcnt vmcnt(8) lgkmcnt(4)
	v_mul_f32_e32 v130, v53, v114
	v_mul_f32_e32 v96, v52, v114
	s_waitcnt vmcnt(7)
	v_mul_f32_e32 v131, v55, v98
	v_mul_f32_e32 v114, v54, v98
	;; [unrolled: 6-line block ×5, first 2 shown]
	s_waitcnt vmcnt(0) lgkmcnt(0)
	v_mul_f32_e32 v138, v126, v124
	v_mul_f32_e32 v122, v125, v124
	v_fma_f32 v127, v48, v91, -v127
	v_fmac_f32_e32 v128, v49, v91
	v_fma_f32 v91, v50, v95, -v129
	v_fmac_f32_e32 v92, v51, v95
	;; [unrolled: 2-line block ×11, first 2 shown]
	ds_write2_b64 v102, v[127:128], v[91:92] offset1:77
	ds_write2_b64 v102, v[95:96], v[113:114] offset0:154 offset1:231
	ds_write2_b64 v111, v[97:98], v[115:116] offset0:52 offset1:129
	;; [unrolled: 1-line block ×4, first 2 shown]
	ds_write_b64 v102, v[121:122] offset:6160
	s_waitcnt lgkmcnt(0)
	s_barrier
	buffer_gl0_inv
	ds_read2_b64 v[56:59], v102 offset1:77
	ds_read_b64 v[91:92], v102 offset:6160
	ds_read2_b64 v[64:67], v102 offset0:154 offset1:231
	ds_read2_b64 v[48:51], v110 offset0:104 offset1:181
	;; [unrolled: 1-line block ×4, first 2 shown]
	v_add_nc_u32_e32 v97, 0x400, v102
	s_waitcnt lgkmcnt(0)
	s_barrier
	buffer_gl0_inv
	v_add_f32_e32 v95, v56, v58
	v_add_f32_e32 v96, v57, v59
	;; [unrolled: 1-line block ×3, first 2 shown]
	v_sub_f32_e32 v59, v59, v92
	v_add_f32_e32 v100, v50, v64
	v_add_f32_e32 v107, v51, v65
	v_sub_f32_e32 v108, v64, v50
	v_sub_f32_e32 v113, v65, v51
	v_add_f32_e32 v64, v95, v64
	v_add_f32_e32 v65, v96, v65
	v_add_f32_e32 v98, v91, v58
	v_sub_f32_e32 v58, v58, v91
	v_add_f32_e32 v115, v49, v67
	v_sub_f32_e32 v117, v67, v49
	v_add_f32_e32 v119, v55, v61
	;; [unrolled: 2-line block ×3, first 2 shown]
	v_sub_f32_e32 v125, v63, v53
	v_mul_f32_e32 v95, 0xbf0a6770, v59
	v_mul_f32_e32 v96, 0x3f575c64, v99
	;; [unrolled: 1-line block ×10, first 2 shown]
	v_add_f32_e32 v64, v64, v66
	v_add_f32_e32 v65, v65, v67
	;; [unrolled: 1-line block ×3, first 2 shown]
	v_sub_f32_e32 v116, v66, v48
	v_add_f32_e32 v118, v54, v60
	v_sub_f32_e32 v120, v60, v54
	v_add_f32_e32 v122, v52, v62
	v_sub_f32_e32 v124, v62, v52
	v_mul_f32_e32 v132, 0xbf68dda4, v113
	v_mul_f32_e32 v133, 0x3ed4b147, v107
	;; [unrolled: 1-line block ×40, first 2 shown]
	v_fmamk_f32 v66, v98, 0x3f575c64, v95
	v_fmamk_f32 v67, v58, 0x3f0a6770, v96
	v_fma_f32 v95, 0x3f575c64, v98, -v95
	v_fmac_f32_e32 v96, 0xbf0a6770, v58
	v_fmamk_f32 v164, v98, 0x3ed4b147, v126
	v_fmamk_f32 v165, v58, 0x3f68dda4, v127
	v_fma_f32 v126, 0x3ed4b147, v98, -v126
	v_fmac_f32_e32 v127, 0xbf68dda4, v58
	v_fmamk_f32 v166, v98, 0xbe11bafb, v128
	v_fmamk_f32 v167, v58, 0x3f7d64f0, v129
	v_fma_f32 v128, 0xbe11bafb, v98, -v128
	v_fmamk_f32 v168, v98, 0xbf27a4f4, v130
	v_fmamk_f32 v169, v58, 0x3f4178ce, v131
	v_fma_f32 v130, 0xbf27a4f4, v98, -v130
	;; [unrolled: 3-line block ×3, first 2 shown]
	v_add_f32_e32 v60, v64, v60
	v_add_f32_e32 v61, v65, v61
	v_fmac_f32_e32 v129, 0xbf7d64f0, v58
	v_fmac_f32_e32 v131, 0xbf4178ce, v58
	v_fmac_f32_e32 v99, 0xbe903f40, v58
	v_fmamk_f32 v58, v100, 0x3ed4b147, v132
	v_fmamk_f32 v98, v108, 0x3f68dda4, v133
	v_fma_f32 v132, 0x3ed4b147, v100, -v132
	v_fmac_f32_e32 v133, 0xbf68dda4, v108
	v_fmamk_f32 v172, v100, 0xbf27a4f4, v134
	v_fmamk_f32 v173, v108, 0x3f4178ce, v135
	v_fma_f32 v134, 0xbf27a4f4, v100, -v134
	v_fmac_f32_e32 v135, 0xbf4178ce, v108
	;; [unrolled: 4-line block ×4, first 2 shown]
	v_fmamk_f32 v178, v100, 0x3f575c64, v113
	v_fma_f32 v100, 0x3f575c64, v100, -v113
	v_fmamk_f32 v113, v108, 0xbf0a6770, v107
	v_fmac_f32_e32 v107, 0x3f0a6770, v108
	v_fmamk_f32 v108, v114, 0xbe11bafb, v140
	v_fmamk_f32 v179, v116, 0x3f7d64f0, v141
	v_fma_f32 v140, 0xbe11bafb, v114, -v140
	v_fmac_f32_e32 v141, 0xbf7d64f0, v116
	v_fmamk_f32 v180, v114, 0xbf75a155, v142
	v_fmamk_f32 v181, v116, 0xbe903f40, v143
	v_fma_f32 v142, 0xbf75a155, v114, -v142
	;; [unrolled: 4-line block ×4, first 2 shown]
	v_fmac_f32_e32 v147, 0xbf0a6770, v116
	v_fmamk_f32 v186, v114, 0xbf27a4f4, v117
	v_fma_f32 v114, 0xbf27a4f4, v114, -v117
	v_fmamk_f32 v117, v116, 0x3f4178ce, v115
	v_fmac_f32_e32 v115, 0xbf4178ce, v116
	v_fmamk_f32 v116, v118, 0xbf27a4f4, v148
	v_fma_f32 v148, 0xbf27a4f4, v118, -v148
	v_fmamk_f32 v187, v118, 0xbe11bafb, v149
	v_fma_f32 v149, 0xbe11bafb, v118, -v149
	;; [unrolled: 2-line block ×5, first 2 shown]
	v_fmamk_f32 v121, v120, 0x3f4178ce, v152
	v_fmac_f32_e32 v152, 0xbf4178ce, v120
	v_fmamk_f32 v191, v120, 0xbf7d64f0, v153
	v_fmac_f32_e32 v153, 0x3f7d64f0, v120
	;; [unrolled: 2-line block ×5, first 2 shown]
	v_fmamk_f32 v120, v122, 0xbf75a155, v156
	v_fma_f32 v156, 0xbf75a155, v122, -v156
	v_fmamk_f32 v195, v122, 0x3f575c64, v157
	v_fma_f32 v157, 0x3f575c64, v122, -v157
	;; [unrolled: 2-line block ×5, first 2 shown]
	v_fmamk_f32 v125, v124, 0x3e903f40, v160
	v_fmac_f32_e32 v160, 0xbe903f40, v124
	v_fmamk_f32 v199, v124, 0xbf0a6770, v161
	v_fmac_f32_e32 v161, 0x3f0a6770, v124
	;; [unrolled: 2-line block ×5, first 2 shown]
	v_add_f32_e32 v66, v56, v66
	v_add_f32_e32 v67, v57, v67
	;; [unrolled: 1-line block ×110, first 2 shown]
	ds_write2_b64 v104, v[56:57], v[58:59] offset0:2 offset1:3
	v_add_f32_e32 v56, v64, v91
	v_add_f32_e32 v57, v65, v92
	ds_write2_b64 v104, v[60:61], v[62:63] offset0:4 offset1:5
	ds_write2_b64 v104, v[50:51], v[48:49] offset0:6 offset1:7
	ds_write2_b64 v104, v[95:96], v[66:67] offset0:8 offset1:9
	ds_write_b64 v104, v[52:53] offset:80
	ds_write2_b64 v104, v[56:57], v[54:55] offset1:1
	s_waitcnt lgkmcnt(0)
	s_barrier
	buffer_gl0_inv
	ds_read2_b64 v[54:57], v102 offset1:121
	ds_read2_b64 v[62:65], v97 offset0:114 offset1:235
	ds_read2_b64 v[58:61], v112 offset0:100 offset1:221
	ds_read_b64 v[91:92], v102 offset:5808
	s_and_saveexec_b32 s0, vcc_lo
	s_cbranch_execz .LBB0_7
; %bb.6:
	ds_read2_b64 v[50:53], v111 offset0:63 offset1:184
	ds_read2_b64 v[97:100], v102 offset0:77 offset1:198
	;; [unrolled: 1-line block ×3, first 2 shown]
	ds_read_b64 v[93:94], v102 offset:6424
	s_waitcnt lgkmcnt(3)
	v_mov_b32_e32 v66, v50
	v_mov_b32_e32 v67, v51
	s_waitcnt lgkmcnt(2)
	v_mov_b32_e32 v95, v99
	v_mov_b32_e32 v96, v100
	;; [unrolled: 1-line block ×4, first 2 shown]
.LBB0_7:
	s_or_b32 exec_lo, exec_lo, s0
	s_waitcnt lgkmcnt(3)
	v_mul_f32_e32 v50, v21, v57
	v_mul_f32_e32 v21, v21, v56
	s_waitcnt lgkmcnt(2)
	v_mul_f32_e32 v51, v23, v63
	v_mul_f32_e32 v23, v23, v62
	s_waitcnt lgkmcnt(0)
	v_fmac_f32_e32 v50, v20, v56
	v_fma_f32 v20, v20, v57, -v21
	v_mul_f32_e32 v21, v17, v65
	v_mul_f32_e32 v17, v17, v64
	v_fmac_f32_e32 v51, v22, v62
	v_fma_f32 v22, v22, v63, -v23
	v_mul_f32_e32 v23, v13, v61
	v_fmac_f32_e32 v21, v16, v64
	v_fma_f32 v16, v16, v65, -v17
	v_mul_f32_e32 v17, v15, v92
	v_mul_f32_e32 v15, v15, v91
	;; [unrolled: 1-line block ×5, first 2 shown]
	v_fmac_f32_e32 v17, v14, v91
	v_fma_f32 v14, v14, v92, -v15
	v_fmac_f32_e32 v23, v12, v60
	v_fma_f32 v12, v12, v61, -v13
	;; [unrolled: 2-line block ×3, first 2 shown]
	v_add_f32_e32 v13, v50, v17
	v_add_f32_e32 v18, v20, v14
	v_sub_f32_e32 v14, v20, v14
	v_add_f32_e32 v19, v51, v23
	v_add_f32_e32 v20, v22, v12
	v_sub_f32_e32 v17, v50, v17
	v_sub_f32_e32 v23, v51, v23
	;; [unrolled: 1-line block ×3, first 2 shown]
	v_add_f32_e32 v22, v21, v56
	v_add_f32_e32 v50, v16, v15
	v_sub_f32_e32 v21, v56, v21
	v_sub_f32_e32 v15, v15, v16
	v_add_f32_e32 v16, v19, v13
	v_add_f32_e32 v51, v20, v18
	v_sub_f32_e32 v56, v19, v13
	v_sub_f32_e32 v57, v20, v18
	;; [unrolled: 1-line block ×6, first 2 shown]
	v_add_f32_e32 v13, v21, v23
	v_add_f32_e32 v59, v15, v12
	v_sub_f32_e32 v60, v21, v23
	v_sub_f32_e32 v61, v15, v12
	v_add_f32_e32 v16, v22, v16
	v_add_f32_e32 v22, v50, v51
	v_sub_f32_e32 v23, v23, v17
	v_sub_f32_e32 v50, v12, v14
	;; [unrolled: 1-line block ×4, first 2 shown]
	v_add_f32_e32 v17, v13, v17
	v_add_f32_e32 v14, v59, v14
	;; [unrolled: 1-line block ×4, first 2 shown]
	v_mul_f32_e32 v51, 0x3f4a47b2, v58
	v_mul_f32_e32 v18, 0x3f4a47b2, v18
	;; [unrolled: 1-line block ×8, first 2 shown]
	v_fmamk_f32 v16, v16, 0xbf955555, v12
	v_fmamk_f32 v22, v22, 0xbf955555, v13
	;; [unrolled: 1-line block ×4, first 2 shown]
	v_fma_f32 v54, 0x3f3bfb3b, v56, -v54
	v_fma_f32 v55, 0x3f3bfb3b, v57, -v55
	;; [unrolled: 1-line block ×4, first 2 shown]
	v_fmamk_f32 v56, v21, 0xbeae86e6, v58
	v_fmamk_f32 v57, v15, 0xbeae86e6, v59
	v_fma_f32 v23, 0xbf5ff5aa, v23, -v58
	v_fma_f32 v50, 0xbf5ff5aa, v50, -v59
	;; [unrolled: 1-line block ×4, first 2 shown]
	v_add_f32_e32 v60, v19, v16
	v_add_f32_e32 v61, v20, v22
	v_fmac_f32_e32 v56, 0xbee1c552, v17
	v_fmac_f32_e32 v57, 0xbee1c552, v14
	v_add_f32_e32 v20, v54, v16
	v_add_f32_e32 v21, v55, v22
	;; [unrolled: 1-line block ×4, first 2 shown]
	v_fmac_f32_e32 v23, 0xbee1c552, v17
	v_fmac_f32_e32 v59, 0xbee1c552, v14
	;; [unrolled: 1-line block ×4, first 2 shown]
	v_add_f32_e32 v14, v57, v60
	v_sub_f32_e32 v15, v61, v56
	v_add_f32_e32 v16, v59, v51
	v_sub_f32_e32 v17, v54, v58
	v_sub_f32_e32 v18, v20, v50
	v_add_f32_e32 v19, v23, v21
	v_add_f32_e32 v20, v50, v20
	v_sub_f32_e32 v21, v21, v23
	v_sub_f32_e32 v22, v51, v59
	v_add_f32_e32 v23, v58, v54
	v_sub_f32_e32 v50, v60, v57
	v_add_f32_e32 v51, v56, v61
	s_barrier
	buffer_gl0_inv
	ds_write2_b64 v109, v[12:13], v[14:15] offset1:11
	ds_write2_b64 v109, v[16:17], v[18:19] offset0:22 offset1:33
	ds_write2_b64 v109, v[20:21], v[22:23] offset0:44 offset1:55
	ds_write_b64 v109, v[50:51] offset:528
	s_and_saveexec_b32 s0, vcc_lo
	s_cbranch_execz .LBB0_9
; %bb.8:
	v_mul_f32_e32 v14, v5, v96
	v_mul_f32_e32 v15, v11, v94
	;; [unrolled: 1-line block ×7, first 2 shown]
	v_fmac_f32_e32 v14, v4, v95
	v_fmac_f32_e32 v15, v10, v93
	;; [unrolled: 1-line block ×6, first 2 shown]
	v_mul_f32_e32 v5, v5, v95
	v_fma_f32 v10, v10, v94, -v11
	v_mul_f32_e32 v9, v9, v46
	v_mul_f32_e32 v7, v7, v66
	;; [unrolled: 1-line block ×4, first 2 shown]
	v_sub_f32_e32 v11, v14, v15
	v_add_f32_e32 v14, v15, v14
	v_add_f32_e32 v15, v18, v16
	v_sub_f32_e32 v17, v12, v13
	v_fma_f32 v4, v4, v96, -v5
	v_fma_f32 v5, v8, v47, -v9
	;; [unrolled: 1-line block ×5, first 2 shown]
	v_sub_f32_e32 v9, v16, v18
	v_add_f32_e32 v12, v13, v12
	v_add_f32_e32 v16, v15, v14
	;; [unrolled: 1-line block ×5, first 2 shown]
	v_sub_f32_e32 v19, v17, v9
	v_sub_f32_e32 v21, v11, v17
	v_add_f32_e32 v17, v17, v9
	v_sub_f32_e32 v18, v14, v12
	v_sub_f32_e32 v2, v2, v0
	;; [unrolled: 1-line block ×4, first 2 shown]
	v_add_f32_e32 v12, v12, v16
	v_sub_f32_e32 v4, v4, v10
	v_add_f32_e32 v3, v8, v7
	v_sub_f32_e32 v20, v7, v1
	v_sub_f32_e32 v22, v1, v8
	v_add_f32_e32 v17, v17, v11
	v_mul_f32_e32 v16, 0x3f4a47b2, v18
	v_sub_f32_e32 v10, v2, v5
	v_add_f32_e32 v0, v48, v12
	v_sub_f32_e32 v9, v9, v11
	v_sub_f32_e32 v11, v4, v2
	;; [unrolled: 1-line block ×4, first 2 shown]
	v_add_f32_e32 v2, v2, v5
	v_sub_f32_e32 v14, v15, v14
	v_add_f32_e32 v3, v1, v3
	v_mul_f32_e32 v19, 0x3f08b237, v19
	v_mul_f32_e32 v20, 0x3f4a47b2, v20
	;; [unrolled: 1-line block ×5, first 2 shown]
	v_fmamk_f32 v6, v6, 0x3d64c772, v16
	v_fmamk_f32 v12, v12, 0xbf955555, v0
	v_mul_f32_e32 v15, 0xbf5ff5aa, v8
	v_add_f32_e32 v2, v2, v4
	v_fma_f32 v4, 0xbf3bfb3b, v14, -v16
	v_add_f32_e32 v1, v49, v3
	v_fmamk_f32 v23, v21, 0xbeae86e6, v19
	v_fmamk_f32 v44, v22, 0x3d64c772, v20
	v_mul_f32_e32 v22, 0xbf5ff5aa, v9
	v_fmamk_f32 v46, v11, 0xbeae86e6, v10
	v_fma_f32 v5, 0xbf3bfb3b, v7, -v20
	v_fma_f32 v15, 0x3eae86e6, v11, -v15
	v_add_f32_e32 v16, v6, v12
	v_add_f32_e32 v6, v4, v12
	v_fma_f32 v4, 0x3f3bfb3b, v7, -v13
	v_fma_f32 v9, 0xbf5ff5aa, v9, -v19
	;; [unrolled: 1-line block ×3, first 2 shown]
	v_mov_b32_e32 v7, 0x4d
	v_fmamk_f32 v45, v3, 0xbf955555, v1
	v_fmac_f32_e32 v46, 0xbee1c552, v2
	v_fmac_f32_e32 v15, 0xbee1c552, v2
	;; [unrolled: 1-line block ×3, first 2 shown]
	v_mul_u32_u24_sdwa v2, v105, v7 dst_sel:DWORD dst_unused:UNUSED_PAD src0_sel:WORD_0 src1_sel:DWORD
	v_fma_f32 v21, 0x3eae86e6, v21, -v22
	v_fma_f32 v8, 0x3f3bfb3b, v14, -v18
	v_fmac_f32_e32 v23, 0xbee1c552, v17
	v_add_f32_e32 v44, v44, v45
	v_add_nc_u32_sdwa v2, v2, v106 dst_sel:DWORD dst_unused:UNUSED_PAD src0_sel:DWORD src1_sel:BYTE_0
	v_fmac_f32_e32 v21, 0xbee1c552, v17
	v_add_f32_e32 v20, v5, v45
	v_add_f32_e32 v10, v4, v45
	v_fmac_f32_e32 v9, 0xbee1c552, v17
	v_add_f32_e32 v14, v8, v12
	v_sub_f32_e32 v13, v44, v23
	v_add_f32_e32 v12, v46, v16
	v_lshl_add_u32 v17, v2, 3, v103
	v_sub_f32_e32 v7, v10, v9
	v_add_f32_e32 v9, v9, v10
	v_sub_f32_e32 v8, v14, v19
	v_sub_f32_e32 v11, v20, v21
	v_add_f32_e32 v10, v15, v6
	v_add_f32_e32 v5, v21, v20
	v_sub_f32_e32 v4, v6, v15
	v_add_f32_e32 v6, v19, v14
	v_add_f32_e32 v3, v23, v44
	v_sub_f32_e32 v2, v16, v46
	ds_write2_b64 v17, v[0:1], v[12:13] offset1:11
	ds_write2_b64 v17, v[10:11], v[8:9] offset0:22 offset1:33
	ds_write2_b64 v17, v[6:7], v[4:5] offset0:44 offset1:55
	ds_write_b64 v17, v[2:3] offset:528
.LBB0_9:
	s_or_b32 exec_lo, exec_lo, s0
	s_waitcnt lgkmcnt(0)
	s_barrier
	buffer_gl0_inv
	ds_read2_b64 v[3:6], v102 offset1:77
	ds_read2_b64 v[7:10], v102 offset0:154 offset1:231
	v_add_nc_u32_e32 v2, 0x800, v102
	v_add_nc_u32_e32 v1, 0xc00, v102
	;; [unrolled: 1-line block ×3, first 2 shown]
	s_mov_b32 s0, 0xe9078e5b
	s_mov_b32 s1, 0x3f5357f3
	ds_read2_b64 v[11:14], v2 offset0:52 offset1:129
	ds_read_b64 v[44:45], v102 offset:6160
	ds_read2_b64 v[15:18], v1 offset0:78 offset1:155
	ds_read2_b64 v[19:22], v0 offset0:104 offset1:181
	s_mul_i32 s2, s9, 0x268
	s_mul_hi_u32 s3, s8, 0x268
	s_add_i32 s2, s3, s2
	s_mul_i32 s3, s8, 0x268
	s_waitcnt lgkmcnt(5)
	v_mul_f32_e32 v23, v41, v6
	v_mul_f32_e32 v41, v41, v5
	s_waitcnt lgkmcnt(4)
	v_mul_f32_e32 v46, v43, v8
	v_mul_f32_e32 v43, v43, v7
	;; [unrolled: 1-line block ×3, first 2 shown]
	v_fmac_f32_e32 v23, v40, v5
	v_fma_f32 v5, v40, v6, -v41
	v_fmac_f32_e32 v46, v42, v7
	v_fma_f32 v7, v42, v8, -v43
	s_waitcnt lgkmcnt(3)
	v_mul_f32_e32 v8, v39, v12
	v_mul_f32_e32 v6, v39, v11
	;; [unrolled: 1-line block ×3, first 2 shown]
	v_fmac_f32_e32 v47, v36, v9
	v_mul_f32_e32 v9, v29, v14
	v_fmac_f32_e32 v8, v38, v11
	v_fma_f32 v11, v38, v12, -v6
	v_add_f32_e32 v6, v3, v23
	v_mul_f32_e32 v29, v29, v13
	v_fmac_f32_e32 v9, v28, v13
	v_add_f32_e32 v13, v4, v5
	v_fma_f32 v10, v36, v10, -v37
	v_add_f32_e32 v6, v6, v46
	s_waitcnt lgkmcnt(1)
	v_mul_f32_e32 v12, v31, v16
	v_fma_f32 v14, v28, v14, -v29
	v_add_f32_e32 v13, v13, v7
	v_mul_f32_e32 v28, v31, v15
	v_add_f32_e32 v6, v6, v47
	v_fmac_f32_e32 v12, v30, v15
	v_mul_f32_e32 v15, v25, v18
	v_add_f32_e32 v13, v13, v10
	v_mul_f32_e32 v25, v25, v17
	v_add_f32_e32 v6, v6, v8
	v_fma_f32 v16, v30, v16, -v28
	v_fmac_f32_e32 v15, v24, v17
	v_add_f32_e32 v13, v13, v11
	s_waitcnt lgkmcnt(0)
	v_mul_f32_e32 v17, v27, v20
	v_add_f32_e32 v6, v6, v9
	v_fma_f32 v18, v24, v18, -v25
	v_mul_f32_e32 v24, v27, v19
	v_add_f32_e32 v13, v13, v14
	v_fmac_f32_e32 v17, v26, v19
	v_add_f32_e32 v6, v6, v12
	v_mul_f32_e32 v19, v33, v22
	v_fma_f32 v20, v26, v20, -v24
	v_mul_f32_e32 v24, v35, v44
	v_add_f32_e32 v13, v13, v16
	v_add_f32_e32 v6, v6, v15
	v_fmac_f32_e32 v19, v32, v21
	v_mul_f32_e32 v25, v35, v45
	v_fma_f32 v24, v34, v45, -v24
	v_mul_f32_e32 v21, v33, v21
	v_add_f32_e32 v13, v13, v18
	v_add_f32_e32 v6, v6, v17
	v_fmac_f32_e32 v25, v34, v44
	v_sub_f32_e32 v26, v5, v24
	v_fma_f32 v21, v32, v22, -v21
	v_add_f32_e32 v13, v13, v20
	v_add_f32_e32 v28, v5, v24
	;; [unrolled: 1-line block ×4, first 2 shown]
	v_mul_f32_e32 v27, 0xbf0a6770, v26
	v_add_f32_e32 v6, v13, v21
	v_sub_f32_e32 v13, v23, v25
	v_mul_f32_e32 v29, 0x3f575c64, v28
	v_add_f32_e32 v5, v5, v25
	v_mul_f32_e32 v25, 0xbf68dda4, v26
	v_mul_f32_e32 v30, 0x3ed4b147, v28
	;; [unrolled: 1-line block ×8, first 2 shown]
	v_sub_f32_e32 v43, v7, v21
	v_add_f32_e32 v7, v7, v21
	v_fmamk_f32 v23, v22, 0x3f575c64, v27
	v_add_f32_e32 v6, v6, v24
	v_fmamk_f32 v24, v13, 0x3f0a6770, v29
	v_fma_f32 v27, 0x3f575c64, v22, -v27
	v_fmac_f32_e32 v29, 0xbf0a6770, v13
	v_fmamk_f32 v31, v22, 0x3ed4b147, v25
	v_fmamk_f32 v32, v13, 0x3f68dda4, v30
	v_fma_f32 v25, 0x3ed4b147, v22, -v25
	v_fmac_f32_e32 v30, 0xbf68dda4, v13
	v_fmamk_f32 v34, v22, 0xbe11bafb, v33
	;; [unrolled: 4-line block ×4, first 2 shown]
	v_fmamk_f32 v42, v13, 0x3e903f40, v28
	v_add_f32_e32 v44, v46, v19
	v_mul_f32_e32 v21, 0xbf68dda4, v43
	v_fma_f32 v22, 0xbf75a155, v22, -v26
	v_fmac_f32_e32 v28, 0xbe903f40, v13
	v_sub_f32_e32 v13, v46, v19
	v_mul_f32_e32 v19, 0x3ed4b147, v7
	v_add_f32_e32 v23, v3, v23
	v_add_f32_e32 v24, v4, v24
	;; [unrolled: 1-line block ×18, first 2 shown]
	v_fmamk_f32 v26, v44, 0x3ed4b147, v21
	v_add_f32_e32 v3, v3, v22
	v_add_f32_e32 v4, v4, v28
	v_mul_f32_e32 v22, 0xbf4178ce, v43
	v_fmamk_f32 v28, v13, 0x3f68dda4, v19
	v_add_f32_e32 v23, v26, v23
	v_fma_f32 v21, 0x3ed4b147, v44, -v21
	v_fmac_f32_e32 v19, 0xbf68dda4, v13
	v_fmamk_f32 v26, v44, 0xbf27a4f4, v22
	v_add_f32_e32 v24, v28, v24
	v_mul_f32_e32 v28, 0xbf27a4f4, v7
	v_add_f32_e32 v21, v21, v27
	v_add_f32_e32 v19, v19, v29
	;; [unrolled: 1-line block ×3, first 2 shown]
	v_mul_f32_e32 v27, 0x3e903f40, v43
	v_fmamk_f32 v29, v13, 0x3f4178ce, v28
	v_fma_f32 v22, 0xbf27a4f4, v44, -v22
	v_fmac_f32_e32 v28, 0xbf4178ce, v13
	v_mul_f32_e32 v31, 0xbf75a155, v7
	v_fmamk_f32 v45, v44, 0xbf75a155, v27
	v_add_f32_e32 v29, v29, v32
	v_add_f32_e32 v22, v22, v25
	;; [unrolled: 1-line block ×3, first 2 shown]
	v_fmamk_f32 v28, v13, 0xbe903f40, v31
	v_mul_f32_e32 v32, 0x3f7d64f0, v43
	v_fma_f32 v27, 0xbf75a155, v44, -v27
	v_add_f32_e32 v30, v45, v34
	v_fmac_f32_e32 v31, 0x3e903f40, v13
	v_add_f32_e32 v28, v28, v37
	v_fmamk_f32 v37, v44, 0xbe11bafb, v32
	v_add_f32_e32 v27, v27, v33
	v_mul_f32_e32 v33, 0x3f0a6770, v43
	v_mul_f32_e32 v34, 0xbe11bafb, v7
	v_fma_f32 v32, 0xbe11bafb, v44, -v32
	v_add_f32_e32 v37, v37, v38
	v_add_f32_e32 v31, v31, v35
	v_fmamk_f32 v38, v44, 0x3f575c64, v33
	v_fmamk_f32 v35, v13, 0xbf7d64f0, v34
	v_fmac_f32_e32 v34, 0x3f7d64f0, v13
	v_mul_f32_e32 v7, 0x3f575c64, v7
	v_add_f32_e32 v32, v32, v36
	v_add_f32_e32 v36, v38, v41
	v_sub_f32_e32 v38, v10, v20
	v_add_f32_e32 v10, v10, v20
	v_add_f32_e32 v35, v35, v40
	;; [unrolled: 1-line block ×3, first 2 shown]
	v_fmamk_f32 v39, v13, 0xbf0a6770, v7
	v_fma_f32 v33, 0x3f575c64, v44, -v33
	v_add_f32_e32 v20, v47, v17
	v_mul_f32_e32 v40, 0xbf7d64f0, v38
	v_fmac_f32_e32 v7, 0x3f0a6770, v13
	v_sub_f32_e32 v13, v47, v17
	v_mul_f32_e32 v17, 0xbe11bafb, v10
	v_add_f32_e32 v3, v33, v3
	v_fmamk_f32 v41, v20, 0xbe11bafb, v40
	v_add_f32_e32 v4, v7, v4
	v_mul_f32_e32 v33, 0x3e903f40, v38
	v_fmamk_f32 v7, v13, 0x3f7d64f0, v17
	v_fmac_f32_e32 v17, 0xbf7d64f0, v13
	v_add_f32_e32 v23, v41, v23
	v_fma_f32 v40, 0xbe11bafb, v20, -v40
	v_mul_f32_e32 v41, 0xbf75a155, v10
	v_add_f32_e32 v7, v7, v24
	v_fmamk_f32 v24, v20, 0xbf75a155, v33
	v_add_f32_e32 v17, v17, v19
	v_mul_f32_e32 v19, 0x3f68dda4, v38
	v_add_f32_e32 v39, v39, v42
	v_add_f32_e32 v21, v40, v21
	;; [unrolled: 1-line block ×3, first 2 shown]
	v_fmamk_f32 v26, v13, 0xbe903f40, v41
	v_fma_f32 v33, 0xbf75a155, v20, -v33
	v_fmamk_f32 v40, v20, 0x3ed4b147, v19
	v_mul_f32_e32 v42, 0x3ed4b147, v10
	v_fma_f32 v19, 0x3ed4b147, v20, -v19
	v_add_f32_e32 v26, v26, v29
	v_add_f32_e32 v22, v33, v22
	;; [unrolled: 1-line block ×3, first 2 shown]
	v_fmamk_f32 v30, v13, 0xbf68dda4, v42
	v_mul_f32_e32 v33, 0xbf0a6770, v38
	v_fmac_f32_e32 v42, 0x3f68dda4, v13
	v_mul_f32_e32 v40, 0x3f575c64, v10
	v_add_f32_e32 v19, v19, v27
	v_add_f32_e32 v28, v30, v28
	v_fmamk_f32 v30, v20, 0x3f575c64, v33
	v_add_f32_e32 v27, v42, v31
	v_fmamk_f32 v31, v13, 0x3f0a6770, v40
	v_mul_f32_e32 v38, 0xbf4178ce, v38
	v_fma_f32 v33, 0x3f575c64, v20, -v33
	v_fmac_f32_e32 v40, 0xbf0a6770, v13
	v_mul_f32_e32 v10, 0xbf27a4f4, v10
	v_add_f32_e32 v31, v31, v35
	v_fmamk_f32 v35, v20, 0xbf27a4f4, v38
	v_add_f32_e32 v32, v33, v32
	v_add_f32_e32 v33, v40, v34
	v_sub_f32_e32 v34, v11, v18
	v_add_f32_e32 v11, v11, v18
	v_fmac_f32_e32 v41, 0x3e903f40, v13
	v_add_f32_e32 v30, v30, v37
	v_add_f32_e32 v35, v35, v36
	v_fmamk_f32 v36, v13, 0x3f4178ce, v10
	v_add_f32_e32 v37, v8, v15
	v_fmac_f32_e32 v10, 0xbf4178ce, v13
	v_sub_f32_e32 v8, v8, v15
	v_mul_f32_e32 v13, 0xbf27a4f4, v11
	v_mul_f32_e32 v18, 0xbf4178ce, v34
	v_fma_f32 v20, 0xbf27a4f4, v20, -v38
	v_add_f32_e32 v4, v10, v4
	v_add_f32_e32 v25, v41, v25
	v_fmamk_f32 v10, v8, 0x3f4178ce, v13
	v_fmamk_f32 v15, v37, 0xbf27a4f4, v18
	v_add_f32_e32 v3, v20, v3
	v_mul_f32_e32 v20, 0x3f7d64f0, v34
	v_fma_f32 v18, 0xbf27a4f4, v37, -v18
	v_fmac_f32_e32 v13, 0xbf4178ce, v8
	v_add_f32_e32 v7, v10, v7
	v_mul_f32_e32 v10, 0xbe11bafb, v11
	v_add_f32_e32 v15, v15, v23
	v_fmamk_f32 v23, v37, 0xbe11bafb, v20
	v_add_f32_e32 v18, v18, v21
	v_add_f32_e32 v13, v13, v17
	v_mul_f32_e32 v17, 0xbf0a6770, v34
	v_fmamk_f32 v21, v8, 0xbf7d64f0, v10
	v_add_f32_e32 v23, v23, v24
	v_fma_f32 v20, 0xbe11bafb, v37, -v20
	v_fmac_f32_e32 v10, 0x3f7d64f0, v8
	v_fmamk_f32 v24, v37, 0x3f575c64, v17
	v_add_f32_e32 v21, v21, v26
	v_mul_f32_e32 v26, 0x3f575c64, v11
	v_add_f32_e32 v20, v20, v22
	v_add_f32_e32 v22, v10, v25
	;; [unrolled: 1-line block ×3, first 2 shown]
	v_mul_f32_e32 v10, 0xbe903f40, v34
	v_fmamk_f32 v25, v8, 0x3f0a6770, v26
	v_fma_f32 v17, 0x3f575c64, v37, -v17
	v_mul_f32_e32 v29, 0xbf75a155, v11
	v_mul_f32_e32 v11, 0x3ed4b147, v11
	v_fmamk_f32 v38, v37, 0xbf75a155, v10
	v_add_f32_e32 v25, v25, v28
	v_add_f32_e32 v17, v17, v19
	v_fmamk_f32 v19, v8, 0x3e903f40, v29
	v_mul_f32_e32 v28, 0x3f68dda4, v34
	v_fma_f32 v10, 0xbf75a155, v37, -v10
	v_fmac_f32_e32 v29, 0xbe903f40, v8
	v_sub_f32_e32 v34, v14, v16
	v_add_f32_e32 v36, v36, v39
	v_fmac_f32_e32 v26, 0xbf0a6770, v8
	v_add_f32_e32 v19, v19, v31
	v_fmamk_f32 v31, v8, 0xbf68dda4, v11
	v_add_f32_e32 v32, v10, v32
	v_add_f32_e32 v29, v29, v33
	;; [unrolled: 1-line block ×3, first 2 shown]
	v_mul_f32_e32 v10, 0xbe903f40, v34
	v_add_f32_e32 v16, v14, v16
	v_fmac_f32_e32 v11, 0x3f68dda4, v8
	v_add_f32_e32 v26, v26, v27
	v_add_f32_e32 v27, v38, v30
	v_fmamk_f32 v30, v37, 0x3ed4b147, v28
	v_add_f32_e32 v31, v31, v36
	v_fma_f32 v14, 0x3ed4b147, v37, -v28
	v_sub_f32_e32 v28, v9, v12
	v_fmamk_f32 v8, v33, 0xbf75a155, v10
	v_mul_f32_e32 v9, 0xbf75a155, v16
	v_add_f32_e32 v36, v11, v4
	v_mul_f32_e32 v11, 0x3f0a6770, v34
	v_add_f32_e32 v30, v30, v35
	v_add_f32_e32 v35, v14, v3
	;; [unrolled: 1-line block ×3, first 2 shown]
	v_fmamk_f32 v4, v28, 0x3e903f40, v9
	v_fma_f32 v8, 0xbf75a155, v33, -v10
	v_fmac_f32_e32 v9, 0xbe903f40, v28
	v_fmamk_f32 v10, v33, 0x3f575c64, v11
	v_mul_f32_e32 v12, 0x3f575c64, v16
	v_add_f32_e32 v4, v4, v7
	v_add_f32_e32 v7, v8, v18
	;; [unrolled: 1-line block ×4, first 2 shown]
	v_fmamk_f32 v10, v28, 0xbf0a6770, v12
	v_fma_f32 v11, 0x3f575c64, v33, -v11
	v_mul_f32_e32 v13, 0xbf4178ce, v34
	v_fmac_f32_e32 v12, 0x3f0a6770, v28
	v_mul_f32_e32 v37, 0xbf27a4f4, v16
	v_mul_f32_e32 v18, 0x3f68dda4, v34
	v_add_f32_e32 v10, v10, v21
	v_add_f32_e32 v11, v11, v20
	v_fmamk_f32 v14, v33, 0xbf27a4f4, v13
	v_add_f32_e32 v12, v12, v22
	v_fmamk_f32 v15, v28, 0x3f4178ce, v37
	v_fma_f32 v20, 0xbf27a4f4, v33, -v13
	v_mul_f32_e32 v21, 0x3ed4b147, v16
	v_fmamk_f32 v22, v33, 0x3ed4b147, v18
	v_add_f32_e32 v13, v14, v24
	v_add_f32_e32 v14, v15, v25
	;; [unrolled: 1-line block ×3, first 2 shown]
	v_fmamk_f32 v20, v28, 0xbf68dda4, v21
	v_fma_f32 v23, 0x3ed4b147, v33, -v18
	v_add_f32_e32 v17, v22, v27
	v_mul_f32_e32 v22, 0xbf7d64f0, v34
	v_mul_f32_e32 v16, 0xbe11bafb, v16
	v_add_f32_e32 v18, v20, v19
	v_add_f32_e32 v19, v23, v32
	v_fmac_f32_e32 v21, 0x3f68dda4, v28
	v_fmamk_f32 v23, v33, 0xbe11bafb, v22
	v_fmamk_f32 v24, v28, 0x3f7d64f0, v16
	v_fma_f32 v25, 0xbe11bafb, v33, -v22
	v_fmac_f32_e32 v16, 0xbf7d64f0, v28
	v_fmac_f32_e32 v37, 0xbf4178ce, v28
	v_add_f32_e32 v20, v21, v29
	v_add_f32_e32 v21, v23, v30
	;; [unrolled: 1-line block ×6, first 2 shown]
	ds_write2_b64 v102, v[5:6], v[3:4] offset1:77
	ds_write2_b64 v102, v[9:10], v[13:14] offset0:154 offset1:231
	ds_write2_b64 v2, v[17:18], v[21:22] offset0:52 offset1:129
	;; [unrolled: 1-line block ×4, first 2 shown]
	ds_write_b64 v102, v[7:8] offset:6160
	s_waitcnt lgkmcnt(0)
	s_barrier
	buffer_gl0_inv
	ds_read2_b64 v[3:6], v102 offset1:77
	v_mad_u64_u32 v[11:12], null, s10, v68, 0
	v_mad_u64_u32 v[15:16], null, s8, v101, 0
	s_waitcnt lgkmcnt(0)
	v_mul_f32_e32 v7, v88, v4
	v_mul_f32_e32 v8, v88, v3
	;; [unrolled: 1-line block ×4, first 2 shown]
	v_fmac_f32_e32 v7, v87, v3
	v_fma_f32 v8, v87, v4, -v8
	v_fmac_f32_e32 v17, v85, v5
	v_fma_f32 v18, v85, v6, -v18
	v_cvt_f64_f32_e32 v[3:4], v7
	v_cvt_f64_f32_e32 v[7:8], v8
	;; [unrolled: 1-line block ×4, first 2 shown]
	v_mul_f64 v[3:4], v[3:4], s[0:1]
	v_mul_f64 v[13:14], v[7:8], s[0:1]
	ds_read2_b64 v[7:10], v102 offset0:154 offset1:231
	v_mul_f64 v[17:18], v[17:18], s[0:1]
	s_waitcnt lgkmcnt(0)
	v_mul_f32_e32 v23, v84, v8
	v_mad_u64_u32 v[19:20], null, s11, v68, v[12:13]
	v_mov_b32_e32 v12, v16
	v_mul_f32_e32 v16, v84, v7
	v_fmac_f32_e32 v23, v83, v7
	v_cvt_f32_f64_e32 v22, v[13:14]
	v_mad_u64_u32 v[20:21], null, s9, v101, v[12:13]
	v_mov_b32_e32 v12, v19
	v_cvt_f32_f64_e32 v21, v[3:4]
	v_fma_f32 v3, v83, v8, -v16
	v_cvt_f64_f32_e32 v[13:14], v23
	v_lshlrev_b64 v[7:8], 3, v[11:12]
	v_mov_b32_e32 v16, v20
	v_mul_f64 v[11:12], v[5:6], s[0:1]
	v_cvt_f64_f32_e32 v[19:20], v3
	ds_read2_b64 v[2:5], v2 offset0:52 offset1:129
	v_lshlrev_b64 v[15:16], 3, v[15:16]
	v_add_co_u32 v6, vcc_lo, s4, v7
	v_add_co_ci_u32_e32 v7, vcc_lo, s5, v8, vcc_lo
	v_add_co_u32 v15, vcc_lo, v6, v15
	v_mul_f32_e32 v6, v80, v10
	v_add_co_ci_u32_e32 v16, vcc_lo, v7, v16, vcc_lo
	v_mul_f32_e32 v7, v80, v9
	v_fmac_f32_e32 v6, v79, v9
	global_store_dwordx2 v[15:16], v[21:22], off
	v_mul_f64 v[13:14], v[13:14], s[0:1]
	v_fma_f32 v7, v79, v10, -v7
	v_add_co_u32 v15, vcc_lo, v15, s3
	s_waitcnt lgkmcnt(0)
	v_mul_f32_e32 v8, v90, v3
	v_mul_f32_e32 v9, v90, v2
	v_cvt_f32_f64_e32 v11, v[11:12]
	v_cvt_f32_f64_e32 v12, v[17:18]
	v_cvt_f64_f32_e32 v[17:18], v6
	v_fmac_f32_e32 v8, v89, v2
	v_fma_f32 v2, v89, v3, -v9
	v_cvt_f64_f32_e32 v[21:22], v7
	v_mul_f32_e32 v27, v82, v4
	v_mul_f64 v[19:20], v[19:20], s[0:1]
	v_cvt_f64_f32_e32 v[23:24], v8
	v_cvt_f64_f32_e32 v[25:26], v2
	ds_read2_b64 v[6:9], v1 offset0:78 offset1:155
	ds_read2_b64 v[0:3], v0 offset0:104 offset1:181
	v_mul_f32_e32 v10, v82, v5
	v_fma_f32 v29, v81, v5, -v27
	ds_read_b64 v[27:28], v102 offset:6160
	v_add_co_ci_u32_e32 v16, vcc_lo, s2, v16, vcc_lo
	v_fmac_f32_e32 v10, v81, v4
	v_cvt_f64_f32_e32 v[29:30], v29
	v_cvt_f32_f64_e32 v13, v[13:14]
	v_mul_f64 v[17:18], v[17:18], s[0:1]
	v_mul_f64 v[21:22], v[21:22], s[0:1]
	v_cvt_f32_f64_e32 v14, v[19:20]
	v_mul_f64 v[4:5], v[23:24], s[0:1]
	v_mul_f64 v[23:24], v[25:26], s[0:1]
	v_cvt_f64_f32_e32 v[25:26], v10
	s_waitcnt lgkmcnt(2)
	v_mul_f32_e32 v10, v72, v7
	s_waitcnt lgkmcnt(1)
	v_mul_f32_e32 v35, v70, v1
	v_mul_f32_e32 v31, v72, v6
	;; [unrolled: 1-line block ×4, first 2 shown]
	v_fmac_f32_e32 v10, v71, v6
	v_fmac_f32_e32 v35, v69, v0
	v_mul_f32_e32 v0, v70, v0
	v_fma_f32 v31, v71, v7, -v31
	v_mul_f32_e32 v37, v76, v2
	v_cvt_f64_f32_e32 v[6:7], v10
	v_mul_f32_e32 v10, v76, v3
	s_waitcnt lgkmcnt(0)
	v_mul_f32_e32 v38, v78, v28
	v_mul_f32_e32 v39, v78, v27
	v_fmac_f32_e32 v32, v73, v8
	v_fma_f32 v33, v73, v9, -v33
	v_fma_f32 v0, v69, v1, -v0
	v_fmac_f32_e32 v10, v75, v2
	v_fma_f32 v37, v75, v3, -v37
	v_cvt_f64_f32_e32 v[8:9], v31
	v_fmac_f32_e32 v38, v77, v27
	v_fma_f32 v39, v77, v28, -v39
	v_cvt_f64_f32_e32 v[31:32], v32
	v_cvt_f64_f32_e32 v[33:34], v33
	v_cvt_f64_f32_e32 v[35:36], v35
	v_cvt_f64_f32_e32 v[0:1], v0
	v_cvt_f64_f32_e32 v[2:3], v10
	v_cvt_f64_f32_e32 v[27:28], v37
	v_cvt_f64_f32_e32 v[37:38], v38
	v_cvt_f64_f32_e32 v[39:40], v39
	v_add_co_u32 v19, vcc_lo, v15, s3
	v_add_co_ci_u32_e32 v20, vcc_lo, s2, v16, vcc_lo
	global_store_dwordx2 v[15:16], v[11:12], off
	global_store_dwordx2 v[19:20], v[13:14], off
	v_mul_f64 v[12:13], v[25:26], s[0:1]
	v_mul_f64 v[14:15], v[29:30], s[0:1]
	v_add_co_u32 v16, vcc_lo, v19, s3
	v_mul_f64 v[6:7], v[6:7], s[0:1]
	v_mul_f64 v[8:9], v[8:9], s[0:1]
	v_cvt_f32_f64_e32 v10, v[17:18]
	v_cvt_f32_f64_e32 v11, v[21:22]
	v_add_co_ci_u32_e32 v17, vcc_lo, s2, v20, vcc_lo
	v_mul_f64 v[18:19], v[31:32], s[0:1]
	v_mul_f64 v[20:21], v[33:34], s[0:1]
	v_cvt_f32_f64_e32 v4, v[4:5]
	v_cvt_f32_f64_e32 v5, v[23:24]
	v_mul_f64 v[22:23], v[35:36], s[0:1]
	v_mul_f64 v[0:1], v[0:1], s[0:1]
	;; [unrolled: 1-line block ×6, first 2 shown]
	v_add_co_u32 v30, vcc_lo, v16, s3
	v_add_co_ci_u32_e32 v31, vcc_lo, s2, v17, vcc_lo
	v_cvt_f32_f64_e32 v12, v[12:13]
	v_cvt_f32_f64_e32 v13, v[14:15]
	v_add_co_u32 v14, vcc_lo, v30, s3
	v_add_co_ci_u32_e32 v15, vcc_lo, s2, v31, vcc_lo
	v_cvt_f32_f64_e32 v6, v[6:7]
	v_cvt_f32_f64_e32 v7, v[8:9]
	;; [unrolled: 4-line block ×3, first 2 shown]
	v_cvt_f32_f64_e32 v20, v[22:23]
	v_cvt_f32_f64_e32 v21, v[0:1]
	;; [unrolled: 1-line block ×6, first 2 shown]
	v_add_co_u32 v22, vcc_lo, v8, s3
	v_add_co_ci_u32_e32 v23, vcc_lo, s2, v9, vcc_lo
	global_store_dwordx2 v[16:17], v[10:11], off
	v_add_co_u32 v10, vcc_lo, v22, s3
	v_add_co_ci_u32_e32 v11, vcc_lo, s2, v23, vcc_lo
	global_store_dwordx2 v[30:31], v[4:5], off
	v_add_co_u32 v4, vcc_lo, v10, s3
	v_add_co_ci_u32_e32 v5, vcc_lo, s2, v11, vcc_lo
	global_store_dwordx2 v[14:15], v[12:13], off
	v_add_co_u32 v12, vcc_lo, v4, s3
	v_add_co_ci_u32_e32 v13, vcc_lo, s2, v5, vcc_lo
	global_store_dwordx2 v[8:9], v[6:7], off
	global_store_dwordx2 v[22:23], v[18:19], off
	global_store_dwordx2 v[10:11], v[20:21], off
	;; [unrolled: 1-line block ×4, first 2 shown]
.LBB0_10:
	s_endpgm
	.section	.rodata,"a",@progbits
	.p2align	6, 0x0
	.amdhsa_kernel bluestein_single_fwd_len847_dim1_sp_op_CI_CI
		.amdhsa_group_segment_fixed_size 20328
		.amdhsa_private_segment_fixed_size 0
		.amdhsa_kernarg_size 104
		.amdhsa_user_sgpr_count 6
		.amdhsa_user_sgpr_private_segment_buffer 1
		.amdhsa_user_sgpr_dispatch_ptr 0
		.amdhsa_user_sgpr_queue_ptr 0
		.amdhsa_user_sgpr_kernarg_segment_ptr 1
		.amdhsa_user_sgpr_dispatch_id 0
		.amdhsa_user_sgpr_flat_scratch_init 0
		.amdhsa_user_sgpr_private_segment_size 0
		.amdhsa_wavefront_size32 1
		.amdhsa_uses_dynamic_stack 0
		.amdhsa_system_sgpr_private_segment_wavefront_offset 0
		.amdhsa_system_sgpr_workgroup_id_x 1
		.amdhsa_system_sgpr_workgroup_id_y 0
		.amdhsa_system_sgpr_workgroup_id_z 0
		.amdhsa_system_sgpr_workgroup_info 0
		.amdhsa_system_vgpr_workitem_id 0
		.amdhsa_next_free_vgpr 210
		.amdhsa_next_free_sgpr 20
		.amdhsa_reserve_vcc 1
		.amdhsa_reserve_flat_scratch 0
		.amdhsa_float_round_mode_32 0
		.amdhsa_float_round_mode_16_64 0
		.amdhsa_float_denorm_mode_32 3
		.amdhsa_float_denorm_mode_16_64 3
		.amdhsa_dx10_clamp 1
		.amdhsa_ieee_mode 1
		.amdhsa_fp16_overflow 0
		.amdhsa_workgroup_processor_mode 1
		.amdhsa_memory_ordered 1
		.amdhsa_forward_progress 0
		.amdhsa_shared_vgpr_count 0
		.amdhsa_exception_fp_ieee_invalid_op 0
		.amdhsa_exception_fp_denorm_src 0
		.amdhsa_exception_fp_ieee_div_zero 0
		.amdhsa_exception_fp_ieee_overflow 0
		.amdhsa_exception_fp_ieee_underflow 0
		.amdhsa_exception_fp_ieee_inexact 0
		.amdhsa_exception_int_div_zero 0
	.end_amdhsa_kernel
	.text
.Lfunc_end0:
	.size	bluestein_single_fwd_len847_dim1_sp_op_CI_CI, .Lfunc_end0-bluestein_single_fwd_len847_dim1_sp_op_CI_CI
                                        ; -- End function
	.section	.AMDGPU.csdata,"",@progbits
; Kernel info:
; codeLenInByte = 14396
; NumSgprs: 22
; NumVgprs: 210
; ScratchSize: 0
; MemoryBound: 0
; FloatMode: 240
; IeeeMode: 1
; LDSByteSize: 20328 bytes/workgroup (compile time only)
; SGPRBlocks: 2
; VGPRBlocks: 26
; NumSGPRsForWavesPerEU: 22
; NumVGPRsForWavesPerEU: 210
; Occupancy: 4
; WaveLimiterHint : 1
; COMPUTE_PGM_RSRC2:SCRATCH_EN: 0
; COMPUTE_PGM_RSRC2:USER_SGPR: 6
; COMPUTE_PGM_RSRC2:TRAP_HANDLER: 0
; COMPUTE_PGM_RSRC2:TGID_X_EN: 1
; COMPUTE_PGM_RSRC2:TGID_Y_EN: 0
; COMPUTE_PGM_RSRC2:TGID_Z_EN: 0
; COMPUTE_PGM_RSRC2:TIDIG_COMP_CNT: 0
	.text
	.p2alignl 6, 3214868480
	.fill 48, 4, 3214868480
	.type	__hip_cuid_c83a6e1c6e2e4a89,@object ; @__hip_cuid_c83a6e1c6e2e4a89
	.section	.bss,"aw",@nobits
	.globl	__hip_cuid_c83a6e1c6e2e4a89
__hip_cuid_c83a6e1c6e2e4a89:
	.byte	0                               ; 0x0
	.size	__hip_cuid_c83a6e1c6e2e4a89, 1

	.ident	"AMD clang version 19.0.0git (https://github.com/RadeonOpenCompute/llvm-project roc-6.4.0 25133 c7fe45cf4b819c5991fe208aaa96edf142730f1d)"
	.section	".note.GNU-stack","",@progbits
	.addrsig
	.addrsig_sym __hip_cuid_c83a6e1c6e2e4a89
	.amdgpu_metadata
---
amdhsa.kernels:
  - .args:
      - .actual_access:  read_only
        .address_space:  global
        .offset:         0
        .size:           8
        .value_kind:     global_buffer
      - .actual_access:  read_only
        .address_space:  global
        .offset:         8
        .size:           8
        .value_kind:     global_buffer
      - .actual_access:  read_only
        .address_space:  global
        .offset:         16
        .size:           8
        .value_kind:     global_buffer
      - .actual_access:  read_only
        .address_space:  global
        .offset:         24
        .size:           8
        .value_kind:     global_buffer
      - .actual_access:  read_only
        .address_space:  global
        .offset:         32
        .size:           8
        .value_kind:     global_buffer
      - .offset:         40
        .size:           8
        .value_kind:     by_value
      - .address_space:  global
        .offset:         48
        .size:           8
        .value_kind:     global_buffer
      - .address_space:  global
        .offset:         56
        .size:           8
        .value_kind:     global_buffer
      - .address_space:  global
        .offset:         64
        .size:           8
        .value_kind:     global_buffer
      - .address_space:  global
        .offset:         72
        .size:           8
        .value_kind:     global_buffer
      - .offset:         80
        .size:           4
        .value_kind:     by_value
      - .address_space:  global
        .offset:         88
        .size:           8
        .value_kind:     global_buffer
      - .address_space:  global
        .offset:         96
        .size:           8
        .value_kind:     global_buffer
    .group_segment_fixed_size: 20328
    .kernarg_segment_align: 8
    .kernarg_segment_size: 104
    .language:       OpenCL C
    .language_version:
      - 2
      - 0
    .max_flat_workgroup_size: 231
    .name:           bluestein_single_fwd_len847_dim1_sp_op_CI_CI
    .private_segment_fixed_size: 0
    .sgpr_count:     22
    .sgpr_spill_count: 0
    .symbol:         bluestein_single_fwd_len847_dim1_sp_op_CI_CI.kd
    .uniform_work_group_size: 1
    .uses_dynamic_stack: false
    .vgpr_count:     210
    .vgpr_spill_count: 0
    .wavefront_size: 32
    .workgroup_processor_mode: 1
amdhsa.target:   amdgcn-amd-amdhsa--gfx1030
amdhsa.version:
  - 1
  - 2
...

	.end_amdgpu_metadata
